;; amdgpu-corpus repo=ROCm/rocFFT kind=compiled arch=gfx1030 opt=O3
	.text
	.amdgcn_target "amdgcn-amd-amdhsa--gfx1030"
	.amdhsa_code_object_version 6
	.protected	fft_rtc_fwd_len840_factors_2_2_2_3_5_7_wgs_56_tpt_56_halfLds_dp_ip_CI_unitstride_sbrr_R2C_dirReg ; -- Begin function fft_rtc_fwd_len840_factors_2_2_2_3_5_7_wgs_56_tpt_56_halfLds_dp_ip_CI_unitstride_sbrr_R2C_dirReg
	.globl	fft_rtc_fwd_len840_factors_2_2_2_3_5_7_wgs_56_tpt_56_halfLds_dp_ip_CI_unitstride_sbrr_R2C_dirReg
	.p2align	8
	.type	fft_rtc_fwd_len840_factors_2_2_2_3_5_7_wgs_56_tpt_56_halfLds_dp_ip_CI_unitstride_sbrr_R2C_dirReg,@function
fft_rtc_fwd_len840_factors_2_2_2_3_5_7_wgs_56_tpt_56_halfLds_dp_ip_CI_unitstride_sbrr_R2C_dirReg: ; @fft_rtc_fwd_len840_factors_2_2_2_3_5_7_wgs_56_tpt_56_halfLds_dp_ip_CI_unitstride_sbrr_R2C_dirReg
; %bb.0:
	s_clause 0x2
	s_load_dwordx4 s[8:11], s[4:5], 0x0
	s_load_dwordx2 s[12:13], s[4:5], 0x50
	s_load_dwordx2 s[2:3], s[4:5], 0x18
	v_mul_u32_u24_e32 v1, 0x493, v0
	v_mov_b32_e32 v3, 0
	v_add_nc_u32_sdwa v5, s6, v1 dst_sel:DWORD dst_unused:UNUSED_PAD src0_sel:DWORD src1_sel:WORD_1
	v_mov_b32_e32 v1, 0
	v_mov_b32_e32 v6, v3
	v_mov_b32_e32 v2, 0
	s_waitcnt lgkmcnt(0)
	v_cmp_lt_u64_e64 s0, s[10:11], 2
	s_and_b32 vcc_lo, exec_lo, s0
	s_cbranch_vccnz .LBB0_8
; %bb.1:
	s_load_dwordx2 s[0:1], s[4:5], 0x10
	v_mov_b32_e32 v1, 0
	s_add_u32 s6, s2, 8
	v_mov_b32_e32 v2, 0
	s_addc_u32 s7, s3, 0
	s_mov_b64 s[16:17], 1
	s_waitcnt lgkmcnt(0)
	s_add_u32 s14, s0, 8
	s_addc_u32 s15, s1, 0
.LBB0_2:                                ; =>This Inner Loop Header: Depth=1
	s_load_dwordx2 s[18:19], s[14:15], 0x0
                                        ; implicit-def: $vgpr7_vgpr8
	s_mov_b32 s0, exec_lo
	s_waitcnt lgkmcnt(0)
	v_or_b32_e32 v4, s19, v6
	v_cmpx_ne_u64_e32 0, v[3:4]
	s_xor_b32 s1, exec_lo, s0
	s_cbranch_execz .LBB0_4
; %bb.3:                                ;   in Loop: Header=BB0_2 Depth=1
	v_cvt_f32_u32_e32 v4, s18
	v_cvt_f32_u32_e32 v7, s19
	s_sub_u32 s0, 0, s18
	s_subb_u32 s20, 0, s19
	v_fmac_f32_e32 v4, 0x4f800000, v7
	v_rcp_f32_e32 v4, v4
	v_mul_f32_e32 v4, 0x5f7ffffc, v4
	v_mul_f32_e32 v7, 0x2f800000, v4
	v_trunc_f32_e32 v7, v7
	v_fmac_f32_e32 v4, 0xcf800000, v7
	v_cvt_u32_f32_e32 v7, v7
	v_cvt_u32_f32_e32 v4, v4
	v_mul_lo_u32 v8, s0, v7
	v_mul_hi_u32 v9, s0, v4
	v_mul_lo_u32 v10, s20, v4
	v_add_nc_u32_e32 v8, v9, v8
	v_mul_lo_u32 v9, s0, v4
	v_add_nc_u32_e32 v8, v8, v10
	v_mul_hi_u32 v10, v4, v9
	v_mul_lo_u32 v11, v4, v8
	v_mul_hi_u32 v12, v4, v8
	v_mul_hi_u32 v13, v7, v9
	v_mul_lo_u32 v9, v7, v9
	v_mul_hi_u32 v14, v7, v8
	v_mul_lo_u32 v8, v7, v8
	v_add_co_u32 v10, vcc_lo, v10, v11
	v_add_co_ci_u32_e32 v11, vcc_lo, 0, v12, vcc_lo
	v_add_co_u32 v9, vcc_lo, v10, v9
	v_add_co_ci_u32_e32 v9, vcc_lo, v11, v13, vcc_lo
	v_add_co_ci_u32_e32 v10, vcc_lo, 0, v14, vcc_lo
	v_add_co_u32 v8, vcc_lo, v9, v8
	v_add_co_ci_u32_e32 v9, vcc_lo, 0, v10, vcc_lo
	v_add_co_u32 v4, vcc_lo, v4, v8
	v_add_co_ci_u32_e32 v7, vcc_lo, v7, v9, vcc_lo
	v_mul_hi_u32 v8, s0, v4
	v_mul_lo_u32 v10, s20, v4
	v_mul_lo_u32 v9, s0, v7
	v_add_nc_u32_e32 v8, v8, v9
	v_mul_lo_u32 v9, s0, v4
	v_add_nc_u32_e32 v8, v8, v10
	v_mul_hi_u32 v10, v4, v9
	v_mul_lo_u32 v11, v4, v8
	v_mul_hi_u32 v12, v4, v8
	v_mul_hi_u32 v13, v7, v9
	v_mul_lo_u32 v9, v7, v9
	v_mul_hi_u32 v14, v7, v8
	v_mul_lo_u32 v8, v7, v8
	v_add_co_u32 v10, vcc_lo, v10, v11
	v_add_co_ci_u32_e32 v11, vcc_lo, 0, v12, vcc_lo
	v_add_co_u32 v9, vcc_lo, v10, v9
	v_add_co_ci_u32_e32 v9, vcc_lo, v11, v13, vcc_lo
	v_add_co_ci_u32_e32 v10, vcc_lo, 0, v14, vcc_lo
	v_add_co_u32 v8, vcc_lo, v9, v8
	v_add_co_ci_u32_e32 v9, vcc_lo, 0, v10, vcc_lo
	v_add_co_u32 v4, vcc_lo, v4, v8
	v_add_co_ci_u32_e32 v11, vcc_lo, v7, v9, vcc_lo
	v_mul_hi_u32 v13, v5, v4
	v_mad_u64_u32 v[9:10], null, v6, v4, 0
	v_mad_u64_u32 v[7:8], null, v5, v11, 0
	;; [unrolled: 1-line block ×3, first 2 shown]
	v_add_co_u32 v4, vcc_lo, v13, v7
	v_add_co_ci_u32_e32 v7, vcc_lo, 0, v8, vcc_lo
	v_add_co_u32 v4, vcc_lo, v4, v9
	v_add_co_ci_u32_e32 v4, vcc_lo, v7, v10, vcc_lo
	v_add_co_ci_u32_e32 v7, vcc_lo, 0, v12, vcc_lo
	v_add_co_u32 v4, vcc_lo, v4, v11
	v_add_co_ci_u32_e32 v9, vcc_lo, 0, v7, vcc_lo
	v_mul_lo_u32 v10, s19, v4
	v_mad_u64_u32 v[7:8], null, s18, v4, 0
	v_mul_lo_u32 v11, s18, v9
	v_sub_co_u32 v7, vcc_lo, v5, v7
	v_add3_u32 v8, v8, v11, v10
	v_sub_nc_u32_e32 v10, v6, v8
	v_subrev_co_ci_u32_e64 v10, s0, s19, v10, vcc_lo
	v_add_co_u32 v11, s0, v4, 2
	v_add_co_ci_u32_e64 v12, s0, 0, v9, s0
	v_sub_co_u32 v13, s0, v7, s18
	v_sub_co_ci_u32_e32 v8, vcc_lo, v6, v8, vcc_lo
	v_subrev_co_ci_u32_e64 v10, s0, 0, v10, s0
	v_cmp_le_u32_e32 vcc_lo, s18, v13
	v_cmp_eq_u32_e64 s0, s19, v8
	v_cndmask_b32_e64 v13, 0, -1, vcc_lo
	v_cmp_le_u32_e32 vcc_lo, s19, v10
	v_cndmask_b32_e64 v14, 0, -1, vcc_lo
	v_cmp_le_u32_e32 vcc_lo, s18, v7
	;; [unrolled: 2-line block ×3, first 2 shown]
	v_cndmask_b32_e64 v15, 0, -1, vcc_lo
	v_cmp_eq_u32_e32 vcc_lo, s19, v10
	v_cndmask_b32_e64 v7, v15, v7, s0
	v_cndmask_b32_e32 v10, v14, v13, vcc_lo
	v_add_co_u32 v13, vcc_lo, v4, 1
	v_add_co_ci_u32_e32 v14, vcc_lo, 0, v9, vcc_lo
	v_cmp_ne_u32_e32 vcc_lo, 0, v10
	v_cndmask_b32_e32 v8, v14, v12, vcc_lo
	v_cndmask_b32_e32 v10, v13, v11, vcc_lo
	v_cmp_ne_u32_e32 vcc_lo, 0, v7
	v_cndmask_b32_e32 v8, v9, v8, vcc_lo
	v_cndmask_b32_e32 v7, v4, v10, vcc_lo
.LBB0_4:                                ;   in Loop: Header=BB0_2 Depth=1
	s_andn2_saveexec_b32 s0, s1
	s_cbranch_execz .LBB0_6
; %bb.5:                                ;   in Loop: Header=BB0_2 Depth=1
	v_cvt_f32_u32_e32 v4, s18
	s_sub_i32 s1, 0, s18
	v_rcp_iflag_f32_e32 v4, v4
	v_mul_f32_e32 v4, 0x4f7ffffe, v4
	v_cvt_u32_f32_e32 v4, v4
	v_mul_lo_u32 v7, s1, v4
	v_mul_hi_u32 v7, v4, v7
	v_add_nc_u32_e32 v4, v4, v7
	v_mul_hi_u32 v4, v5, v4
	v_mul_lo_u32 v7, v4, s18
	v_add_nc_u32_e32 v8, 1, v4
	v_sub_nc_u32_e32 v7, v5, v7
	v_subrev_nc_u32_e32 v9, s18, v7
	v_cmp_le_u32_e32 vcc_lo, s18, v7
	v_cndmask_b32_e32 v7, v7, v9, vcc_lo
	v_cndmask_b32_e32 v4, v4, v8, vcc_lo
	v_cmp_le_u32_e32 vcc_lo, s18, v7
	v_add_nc_u32_e32 v8, 1, v4
	v_cndmask_b32_e32 v7, v4, v8, vcc_lo
	v_mov_b32_e32 v8, v3
.LBB0_6:                                ;   in Loop: Header=BB0_2 Depth=1
	s_or_b32 exec_lo, exec_lo, s0
	s_load_dwordx2 s[0:1], s[6:7], 0x0
	v_mul_lo_u32 v4, v8, s18
	v_mul_lo_u32 v11, v7, s19
	v_mad_u64_u32 v[9:10], null, v7, s18, 0
	s_add_u32 s16, s16, 1
	s_addc_u32 s17, s17, 0
	s_add_u32 s6, s6, 8
	s_addc_u32 s7, s7, 0
	;; [unrolled: 2-line block ×3, first 2 shown]
	v_add3_u32 v4, v10, v11, v4
	v_sub_co_u32 v5, vcc_lo, v5, v9
	v_sub_co_ci_u32_e32 v4, vcc_lo, v6, v4, vcc_lo
	s_waitcnt lgkmcnt(0)
	v_mul_lo_u32 v6, s1, v5
	v_mul_lo_u32 v4, s0, v4
	v_mad_u64_u32 v[1:2], null, s0, v5, v[1:2]
	v_cmp_ge_u64_e64 s0, s[16:17], s[10:11]
	s_and_b32 vcc_lo, exec_lo, s0
	v_add3_u32 v2, v6, v2, v4
	s_cbranch_vccnz .LBB0_9
; %bb.7:                                ;   in Loop: Header=BB0_2 Depth=1
	v_mov_b32_e32 v5, v7
	v_mov_b32_e32 v6, v8
	s_branch .LBB0_2
.LBB0_8:
	v_mov_b32_e32 v8, v6
	v_mov_b32_e32 v7, v5
.LBB0_9:
	s_lshl_b64 s[0:1], s[10:11], 3
	v_mul_hi_u32 v3, 0x4924925, v0
	s_add_u32 s0, s2, s0
	s_addc_u32 s1, s3, s1
	s_load_dwordx2 s[2:3], s[4:5], 0x20
	s_load_dwordx2 s[0:1], s[0:1], 0x0
	v_mul_u32_u24_e32 v3, 56, v3
	v_sub_nc_u32_e32 v84, v0, v3
	v_add_nc_u32_e32 v91, 56, v84
	v_add_nc_u32_e32 v97, 0x70, v84
	;; [unrolled: 1-line block ×5, first 2 shown]
	s_waitcnt lgkmcnt(0)
	v_cmp_gt_u64_e32 vcc_lo, s[2:3], v[7:8]
	v_mul_lo_u32 v3, s0, v8
	v_mul_lo_u32 v4, s1, v7
	v_mad_u64_u32 v[0:1], null, s0, v7, v[1:2]
	v_cmp_le_u64_e64 s0, s[2:3], v[7:8]
	v_add_nc_u32_e32 v93, 0x150, v84
	v_add_nc_u32_e32 v90, 0x188, v84
	v_add3_u32 v1, v4, v1, v3
	s_and_saveexec_b32 s1, s0
	s_xor_b32 s0, exec_lo, s1
; %bb.10:
	v_add_nc_u32_e32 v91, 56, v84
	v_add_nc_u32_e32 v97, 0x70, v84
	;; [unrolled: 1-line block ×7, first 2 shown]
; %bb.11:
	s_or_saveexec_b32 s1, s0
	v_lshlrev_b64 v[88:89], 4, v[0:1]
	v_or_b32_e32 v86, 0x1c0, v84
	s_xor_b32 exec_lo, exec_lo, s1
	s_cbranch_execz .LBB0_13
; %bb.12:
	v_mov_b32_e32 v85, 0
	v_add_co_u32 v12, s0, s12, v88
	v_add_co_ci_u32_e64 v13, s0, s13, v89, s0
	v_lshlrev_b64 v[0:1], 4, v[84:85]
	v_mov_b32_e32 v87, v85
	v_lshl_add_u32 v60, v84, 4, 0
	v_lshlrev_b64 v[10:11], 4, v[86:87]
	v_add_co_u32 v8, s0, v12, v0
	v_add_co_ci_u32_e64 v9, s0, v13, v1, s0
	s_clause 0x1
	global_load_dwordx4 v[0:3], v[8:9], off
	global_load_dwordx4 v[4:7], v[8:9], off offset:896
	v_add_co_u32 v16, s0, 0x800, v8
	v_add_co_ci_u32_e64 v17, s0, 0, v9, s0
	v_add_co_u32 v24, s0, 0x1000, v8
	v_add_co_ci_u32_e64 v25, s0, 0, v9, s0
	v_add_co_u32 v36, s0, 0x1800, v8
	v_add_co_ci_u32_e64 v37, s0, 0, v9, s0
	v_add_co_u32 v32, s0, v12, v10
	v_add_co_ci_u32_e64 v33, s0, v13, v11, s0
	v_add_co_u32 v44, s0, 0x2000, v8
	v_add_co_ci_u32_e64 v45, s0, 0, v9, s0
	v_add_co_u32 v52, s0, 0x2800, v8
	v_add_co_ci_u32_e64 v53, s0, 0, v9, s0
	v_add_co_u32 v56, s0, 0x3000, v8
	v_add_co_ci_u32_e64 v57, s0, 0, v9, s0
	s_clause 0xc
	global_load_dwordx4 v[8:11], v[8:9], off offset:1792
	global_load_dwordx4 v[12:15], v[16:17], off offset:640
	;; [unrolled: 1-line block ×6, first 2 shown]
	global_load_dwordx4 v[32:35], v[32:33], off
	global_load_dwordx4 v[36:39], v[36:37], off offset:1920
	global_load_dwordx4 v[40:43], v[44:45], off offset:768
	;; [unrolled: 1-line block ×6, first 2 shown]
	s_waitcnt vmcnt(14)
	ds_write_b128 v60, v[0:3]
	s_waitcnt vmcnt(13)
	ds_write_b128 v60, v[4:7] offset:896
	s_waitcnt vmcnt(12)
	ds_write_b128 v60, v[8:11] offset:1792
	;; [unrolled: 2-line block ×14, first 2 shown]
.LBB0_13:
	s_or_b32 exec_lo, exec_lo, s1
	v_lshlrev_b32_e32 v85, 4, v84
	s_waitcnt lgkmcnt(0)
	s_barrier
	buffer_gl0_inv
	v_lshl_add_u32 v70, v91, 5, 0
	v_add_nc_u32_e32 v100, 0, v85
	v_lshl_add_u32 v71, v97, 5, 0
	v_lshl_add_u32 v72, v96, 5, 0
	;; [unrolled: 1-line block ×4, first 2 shown]
	ds_read_b128 v[0:3], v100 offset:6720
	ds_read_b128 v[4:7], v100
	ds_read_b128 v[8:11], v100 offset:896
	ds_read_b128 v[12:15], v100 offset:7616
	;; [unrolled: 1-line block ×14, first 2 shown]
	v_lshl_add_u32 v75, v93, 5, 0
	v_cmp_gt_u32_e64 s0, 28, v84
	s_waitcnt lgkmcnt(0)
	s_barrier
	buffer_gl0_inv
	v_add_f64 v[64:65], v[4:5], -v[0:1]
	v_add_f64 v[66:67], v[6:7], -v[2:3]
	;; [unrolled: 1-line block ×16, first 2 shown]
	v_fma_f64 v[4:5], v[4:5], 2.0, -v[64:65]
	v_fma_f64 v[6:7], v[6:7], 2.0, -v[66:67]
	;; [unrolled: 1-line block ×16, first 2 shown]
	v_add_nc_u32_e32 v56, v100, v85
	ds_write_b128 v56, v[64:67] offset:16
	ds_write_b128 v70, v[12:15] offset:16
	;; [unrolled: 1-line block ×5, first 2 shown]
	ds_write_b128 v56, v[4:7]
	ds_write_b128 v70, v[8:11]
	;; [unrolled: 1-line block ×6, first 2 shown]
	ds_write_b128 v74, v[44:47] offset:16
	ds_write_b128 v75, v[52:55]
	ds_write_b128 v75, v[48:51] offset:16
	s_and_saveexec_b32 s1, s0
	s_cbranch_execz .LBB0_15
; %bb.14:
	v_lshl_add_u32 v4, v90, 5, 0
	ds_write_b128 v4, v[0:3]
	ds_write_b128 v4, v[32:35] offset:16
.LBB0_15:
	s_or_b32 exec_lo, exec_lo, s1
	v_lshlrev_b32_e32 v76, 4, v91
	v_lshlrev_b32_e32 v79, 4, v97
	;; [unrolled: 1-line block ×6, first 2 shown]
	v_sub_nc_u32_e32 v8, v70, v76
	v_sub_nc_u32_e32 v9, v71, v79
	;; [unrolled: 1-line block ×6, first 2 shown]
	s_waitcnt lgkmcnt(0)
	s_barrier
	buffer_gl0_inv
	ds_read_b128 v[4:7], v100
	ds_read_b128 v[36:39], v100 offset:6720
	ds_read_b128 v[12:15], v8
	ds_read_b128 v[8:11], v9
	ds_read_b128 v[44:47], v100 offset:7616
	ds_read_b128 v[40:43], v100 offset:8512
	ds_read_b128 v[28:31], v16
	ds_read_b128 v[24:27], v17
	;; [unrolled: 1-line block ×4, first 2 shown]
	ds_read_b128 v[60:63], v100 offset:9408
	ds_read_b128 v[56:59], v100 offset:10304
	;; [unrolled: 1-line block ×4, first 2 shown]
	v_lshlrev_b32_e32 v69, 1, v91
	v_lshlrev_b32_e32 v68, 1, v97
	;; [unrolled: 1-line block ×6, first 2 shown]
	v_lshl_add_u32 v87, v90, 4, 0
	s_and_saveexec_b32 s1, s0
	s_cbranch_execz .LBB0_17
; %bb.16:
	ds_read_b128 v[0:3], v87
	ds_read_b128 v[32:35], v100 offset:12992
.LBB0_17:
	s_or_b32 exec_lo, exec_lo, s1
	v_and_b32_e32 v78, 1, v84
	v_sub_nc_u32_e32 v83, 0, v79
	v_sub_nc_u32_e32 v79, 0, v98
	;; [unrolled: 1-line block ×3, first 2 shown]
	v_lshlrev_b32_e32 v76, 1, v84
	v_lshlrev_b32_e32 v81, 4, v78
	global_load_dwordx4 v[101:104], v81, s[8:9]
	v_sub_nc_u32_e32 v81, 0, v80
	v_sub_nc_u32_e32 v80, 0, v92
	v_and_or_b32 v92, 0x7c, v76, v78
	s_waitcnt vmcnt(0) lgkmcnt(0)
	s_barrier
	buffer_gl0_inv
	v_mul_f64 v[105:106], v[38:39], v[103:104]
	v_mul_f64 v[107:108], v[36:37], v[103:104]
	;; [unrolled: 1-line block ×16, first 2 shown]
	v_fma_f64 v[36:37], v[36:37], v[101:102], -v[105:106]
	v_fma_f64 v[38:39], v[38:39], v[101:102], v[107:108]
	v_fma_f64 v[44:45], v[44:45], v[101:102], -v[109:110]
	v_fma_f64 v[46:47], v[46:47], v[101:102], v[111:112]
	;; [unrolled: 2-line block ×8, first 2 shown]
	v_and_or_b32 v115, 0xfc, v69, v78
	v_and_or_b32 v116, 0x1fc, v68, v78
	v_sub_nc_u32_e32 v48, 0, v77
	v_lshlrev_b32_e32 v77, 1, v90
	v_and_or_b32 v117, 0x1fc, v67, v78
	v_add_f64 v[36:37], v[4:5], -v[36:37]
	v_add_f64 v[38:39], v[6:7], -v[38:39]
	;; [unrolled: 1-line block ×16, first 2 shown]
	v_and_or_b32 v61, 0x3fc, v66, v78
	v_and_or_b32 v62, 0x2fc, v65, v78
	;; [unrolled: 1-line block ×3, first 2 shown]
	v_lshl_add_u32 v61, v61, 4, 0
	v_fma_f64 v[105:106], v[4:5], 2.0, -v[36:37]
	v_fma_f64 v[107:108], v[6:7], 2.0, -v[38:39]
	;; [unrolled: 1-line block ×16, first 2 shown]
	v_lshl_add_u32 v0, v92, 4, 0
	v_lshl_add_u32 v1, v115, 4, 0
	;; [unrolled: 1-line block ×6, first 2 shown]
	ds_write_b128 v0, v[36:39] offset:32
	ds_write_b128 v0, v[105:108]
	ds_write_b128 v1, v[12:15]
	ds_write_b128 v1, v[40:43] offset:32
	ds_write_b128 v2, v[8:11]
	ds_write_b128 v2, v[44:47] offset:32
	;; [unrolled: 2-line block ×6, first 2 shown]
	s_and_saveexec_b32 s1, s0
	s_cbranch_execz .LBB0_19
; %bb.18:
	v_and_or_b32 v0, 0x37c, v77, v78
	v_lshl_add_u32 v0, v0, 4, 0
	ds_write_b128 v0, v[4:7]
	ds_write_b128 v0, v[32:35] offset:32
.LBB0_19:
	s_or_b32 exec_lo, exec_lo, s1
	v_add_nc_u32_e32 v104, v72, v81
	v_add_nc_u32_e32 v103, v73, v80
	;; [unrolled: 1-line block ×5, first 2 shown]
	s_waitcnt lgkmcnt(0)
	s_barrier
	buffer_gl0_inv
	ds_read_b128 v[8:11], v100
	ds_read_b128 v[36:39], v100 offset:6720
	ds_read_b128 v[12:15], v106
	ds_read_b128 v[0:3], v105
	ds_read_b128 v[44:47], v100 offset:7616
	ds_read_b128 v[40:43], v100 offset:8512
	v_add_nc_u32_e32 v101, v75, v48
	ds_read_b128 v[24:27], v104
	ds_read_b128 v[16:19], v103
	ds_read_b128 v[56:59], v100 offset:9408
	ds_read_b128 v[48:51], v100 offset:10304
	ds_read_b128 v[28:31], v102
	ds_read_b128 v[20:23], v101
	ds_read_b128 v[60:63], v100 offset:11200
	ds_read_b128 v[52:55], v100 offset:12096
	s_and_saveexec_b32 s1, s0
	s_cbranch_execz .LBB0_21
; %bb.20:
	ds_read_b128 v[4:7], v87
	ds_read_b128 v[32:35], v100 offset:12992
.LBB0_21:
	s_or_b32 exec_lo, exec_lo, s1
	v_and_b32_e32 v70, 3, v84
	v_lshlrev_b32_e32 v71, 4, v70
	v_and_or_b32 v75, 0x78, v76, v70
	v_and_or_b32 v76, 0x1f8, v68, v70
	;; [unrolled: 1-line block ×4, first 2 shown]
	global_load_dwordx4 v[71:74], v71, s[8:9] offset:32
	v_and_or_b32 v66, 0x3f8, v66, v70
	v_and_or_b32 v65, 0x2f8, v65, v70
	;; [unrolled: 1-line block ×3, first 2 shown]
	s_waitcnt vmcnt(0) lgkmcnt(0)
	s_barrier
	buffer_gl0_inv
	v_lshl_add_u32 v66, v66, 4, 0
	v_lshl_add_u32 v65, v65, 4, 0
	;; [unrolled: 1-line block ×3, first 2 shown]
	v_mul_f64 v[78:79], v[38:39], v[73:74]
	v_mul_f64 v[80:81], v[36:37], v[73:74]
	;; [unrolled: 1-line block ×14, first 2 shown]
	v_fma_f64 v[36:37], v[36:37], v[71:72], -v[78:79]
	v_fma_f64 v[38:39], v[38:39], v[71:72], v[80:81]
	v_fma_f64 v[44:45], v[44:45], v[71:72], -v[82:83]
	v_fma_f64 v[46:47], v[46:47], v[71:72], v[98:99]
	;; [unrolled: 2-line block ×3, first 2 shown]
	v_fma_f64 v[56:57], v[56:57], v[71:72], -v[111:112]
	v_mul_f64 v[111:112], v[34:35], v[73:74]
	v_mul_f64 v[73:74], v[32:33], v[73:74]
	v_fma_f64 v[58:59], v[58:59], v[71:72], v[113:114]
	v_fma_f64 v[82:83], v[48:49], v[71:72], -v[115:116]
	v_fma_f64 v[98:99], v[50:51], v[71:72], v[117:118]
	v_fma_f64 v[60:61], v[60:61], v[71:72], -v[119:120]
	v_fma_f64 v[62:63], v[62:63], v[71:72], v[121:122]
	v_fma_f64 v[107:108], v[52:53], v[71:72], -v[123:124]
	v_fma_f64 v[109:110], v[54:55], v[71:72], v[125:126]
	v_add_f64 v[36:37], v[8:9], -v[36:37]
	v_add_f64 v[38:39], v[10:11], -v[38:39]
	;; [unrolled: 1-line block ×7, first 2 shown]
	v_fma_f64 v[67:68], v[32:33], v[71:72], -v[111:112]
	v_fma_f64 v[71:72], v[34:35], v[71:72], v[73:74]
	v_add_f64 v[50:51], v[26:27], -v[58:59]
	v_add_f64 v[52:53], v[16:17], -v[82:83]
	;; [unrolled: 1-line block ×7, first 2 shown]
	v_fma_f64 v[8:9], v[8:9], 2.0, -v[36:37]
	v_fma_f64 v[10:11], v[10:11], 2.0, -v[38:39]
	;; [unrolled: 1-line block ×7, first 2 shown]
	v_add_f64 v[0:1], v[4:5], -v[67:68]
	v_add_f64 v[2:3], v[6:7], -v[71:72]
	v_fma_f64 v[26:27], v[26:27], 2.0, -v[50:51]
	v_fma_f64 v[16:17], v[16:17], 2.0, -v[52:53]
	;; [unrolled: 1-line block ×7, first 2 shown]
	v_lshl_add_u32 v67, v75, 4, 0
	v_lshl_add_u32 v68, v69, 4, 0
	;; [unrolled: 1-line block ×4, first 2 shown]
	ds_write_b128 v67, v[36:39] offset:64
	ds_write_b128 v67, v[8:11]
	ds_write_b128 v68, v[12:15]
	ds_write_b128 v68, v[40:43] offset:64
	ds_write_b128 v69, v[32:35]
	ds_write_b128 v69, v[44:47] offset:64
	;; [unrolled: 2-line block ×6, first 2 shown]
	s_and_saveexec_b32 s1, s0
	s_cbranch_execz .LBB0_23
; %bb.22:
	v_fma_f64 v[6:7], v[6:7], 2.0, -v[2:3]
	v_fma_f64 v[4:5], v[4:5], 2.0, -v[0:1]
	v_and_or_b32 v8, 0x378, v77, v70
	v_lshl_add_u32 v8, v8, 4, 0
	ds_write_b128 v8, v[4:7]
	ds_write_b128 v8, v[0:3] offset:64
.LBB0_23:
	s_or_b32 exec_lo, exec_lo, s1
	v_and_b32_e32 v72, 7, v84
	s_waitcnt lgkmcnt(0)
	s_barrier
	buffer_gl0_inv
	v_lshrrev_b32_e32 v74, 3, v91
	v_lshlrev_b32_e32 v4, 5, v72
	v_lshrrev_b32_e32 v75, 3, v97
	v_lshrrev_b32_e32 v76, 3, v96
	;; [unrolled: 1-line block ×4, first 2 shown]
	s_clause 0x1
	global_load_dwordx4 v[28:31], v4, s[8:9] offset:96
	global_load_dwordx4 v[24:27], v4, s[8:9] offset:112
	ds_read_b128 v[64:67], v102
	ds_read_b128 v[20:23], v100
	ds_read_b128 v[56:59], v100 offset:5376
	ds_read_b128 v[16:19], v106
	ds_read_b128 v[8:11], v105
	ds_read_b128 v[60:63], v100 offset:9856
	ds_read_b128 v[32:35], v100 offset:10752
	;; [unrolled: 1-line block ×4, first 2 shown]
	ds_read_b128 v[12:15], v104
	ds_read_b128 v[4:7], v103
	ds_read_b128 v[68:71], v100 offset:8960
	ds_read_b128 v[40:43], v100 offset:8064
	;; [unrolled: 1-line block ×4, first 2 shown]
	v_and_b32_e32 v78, 0xff, v84
	v_and_b32_e32 v79, 0xff, v91
	;; [unrolled: 1-line block ×3, first 2 shown]
	v_mul_lo_u32 v81, v74, 24
	v_mul_lo_u32 v82, v75, 24
	;; [unrolled: 1-line block ×3, first 2 shown]
	v_mul_u32_u24_e32 v73, 24, v73
	v_mul_lo_u32 v98, v77, 24
	v_mul_lo_u16 v74, 0xab, v78
	v_mul_lo_u16 v77, 0xab, v79
	;; [unrolled: 1-line block ×3, first 2 shown]
	v_or_b32_e32 v133, v73, v72
	v_or_b32_e32 v135, v81, v72
	v_lshrrev_b16 v75, 12, v74
	v_lshrrev_b16 v73, 12, v77
	;; [unrolled: 1-line block ×3, first 2 shown]
	v_or_b32_e32 v136, v82, v72
	v_or_b32_e32 v137, v76, v72
	;; [unrolled: 1-line block ×3, first 2 shown]
	v_lshl_add_u32 v139, v133, 4, 0
	s_mov_b32 s2, 0xe8584caa
	s_mov_b32 s3, 0x3febb67a
	;; [unrolled: 1-line block ×4, first 2 shown]
	v_mul_lo_u16 v138, v75, 24
	v_mul_lo_u16 v140, v73, 24
	v_mov_b32_e32 v92, 6
	v_mul_lo_u16 v141, v74, 24
	s_waitcnt vmcnt(0) lgkmcnt(0)
	s_barrier
	buffer_gl0_inv
	s_mov_b32 s11, 0xbfee6f0e
	s_mov_b32 s7, 0xbfe2cf23
	s_mov_b32 s14, 0x372fe950
	s_mov_b32 s15, 0x3fd3c6ef
	v_cmp_gt_u32_e64 s1, 8, v84
	v_mul_f64 v[76:77], v[66:67], v[30:31]
	v_mul_f64 v[78:79], v[64:65], v[30:31]
	;; [unrolled: 1-line block ×20, first 2 shown]
	v_fma_f64 v[64:65], v[64:65], v[28:29], -v[76:77]
	v_fma_f64 v[66:67], v[66:67], v[28:29], v[78:79]
	v_fma_f64 v[68:69], v[68:69], v[24:25], -v[80:81]
	v_fma_f64 v[70:71], v[70:71], v[24:25], v[82:83]
	;; [unrolled: 2-line block ×10, first 2 shown]
	v_add_f64 v[26:27], v[20:21], v[64:65]
	v_add_f64 v[46:47], v[22:23], v[66:67]
	v_add_f64 v[42:43], v[64:65], v[68:69]
	v_add_f64 v[44:45], v[66:67], -v[70:71]
	v_add_f64 v[66:67], v[66:67], v[70:71]
	v_add_f64 v[82:83], v[18:19], v[58:59]
	v_add_f64 v[78:79], v[56:57], v[60:61]
	v_add_f64 v[80:81], v[58:59], -v[62:63]
	;; [unrolled: 4-line block ×3, first 2 shown]
	v_add_f64 v[50:51], v[50:51], v[34:35]
	v_add_f64 v[76:77], v[16:17], v[56:57]
	;; [unrolled: 1-line block ×5, first 2 shown]
	v_add_f64 v[64:65], v[64:65], -v[68:69]
	v_add_f64 v[121:122], v[40:41], v[30:31]
	v_add_f64 v[125:126], v[28:29], v[24:25]
	;; [unrolled: 1-line block ×4, first 2 shown]
	v_add_f64 v[129:130], v[38:39], -v[54:55]
	v_add_f64 v[131:132], v[36:37], -v[52:53]
	v_fma_f64 v[36:37], v[42:43], -0.5, v[20:21]
	v_add_f64 v[123:124], v[4:5], v[40:41]
	v_fma_f64 v[38:39], v[66:67], -0.5, v[22:23]
	v_add_f64 v[56:57], v[56:57], -v[60:61]
	v_add_f64 v[98:99], v[8:9], v[48:49]
	v_add_f64 v[66:67], v[40:41], -v[30:31]
	v_fma_f64 v[40:41], v[78:79], -0.5, v[16:17]
	v_fma_f64 v[42:43], v[58:59], -0.5, v[18:19]
	v_add_f64 v[48:49], v[48:49], -v[32:33]
	v_add_f64 v[18:19], v[46:47], v[70:71]
	v_fma_f64 v[46:47], v[107:108], -0.5, v[8:9]
	v_fma_f64 v[50:51], v[50:51], -0.5, v[10:11]
	v_add_f64 v[8:9], v[76:77], v[60:61]
	v_fma_f64 v[58:59], v[113:114], -0.5, v[12:13]
	v_fma_f64 v[60:61], v[117:118], -0.5, v[14:15]
	v_add_f64 v[133:134], v[28:29], -v[24:25]
	v_add_f64 v[10:11], v[82:83], v[62:63]
	v_fma_f64 v[62:63], v[121:122], -0.5, v[4:5]
	v_add_f64 v[4:5], v[115:116], v[52:53]
	v_fma_f64 v[52:53], v[125:126], -0.5, v[6:7]
	v_add_f64 v[16:17], v[26:27], v[68:69]
	v_add_f64 v[22:23], v[127:128], v[24:25]
	v_fma_f64 v[24:25], v[44:45], s[2:3], v[36:37]
	v_add_f64 v[20:21], v[123:124], v[30:31]
	v_fma_f64 v[26:27], v[64:65], s[4:5], v[38:39]
	v_fma_f64 v[28:29], v[44:45], s[4:5], v[36:37]
	v_fma_f64 v[30:31], v[64:65], s[2:3], v[38:39]
	v_add_f64 v[12:13], v[98:99], v[32:33]
	v_add_f64 v[14:15], v[111:112], v[34:35]
	v_fma_f64 v[32:33], v[80:81], s[2:3], v[40:41]
	v_fma_f64 v[34:35], v[56:57], s[4:5], v[42:43]
	;; [unrolled: 1-line block ×8, first 2 shown]
	v_add_f64 v[6:7], v[119:120], v[54:55]
	v_fma_f64 v[48:49], v[129:130], s[2:3], v[58:59]
	v_fma_f64 v[50:51], v[131:132], s[4:5], v[60:61]
	;; [unrolled: 1-line block ×8, first 2 shown]
	v_sub_nc_u16 v52, v84, v138
	v_sub_nc_u16 v53, v91, v140
	v_lshl_add_u32 v66, v135, 4, 0
	v_lshl_add_u32 v67, v136, 4, 0
	v_lshl_add_u32 v68, v137, 4, 0
	v_lshlrev_b32_sdwa v70, v92, v52 dst_sel:DWORD dst_unused:UNUSED_PAD src0_sel:DWORD src1_sel:BYTE_0
	v_lshl_add_u32 v69, v72, 4, 0
	ds_write_b128 v139, v[16:19]
	ds_write_b128 v139, v[24:27] offset:128
	ds_write_b128 v139, v[28:31] offset:256
	ds_write_b128 v66, v[8:11]
	ds_write_b128 v66, v[32:35] offset:128
	ds_write_b128 v66, v[36:39] offset:256
	;; [unrolled: 3-line block ×5, first 2 shown]
	v_lshlrev_b32_sdwa v8, v92, v53 dst_sel:DWORD dst_unused:UNUSED_PAD src0_sel:DWORD src1_sel:BYTE_0
	v_sub_nc_u16 v54, v97, v141
	s_waitcnt lgkmcnt(0)
	s_barrier
	buffer_gl0_inv
	s_clause 0x5
	global_load_dwordx4 v[28:31], v70, s[8:9] offset:352
	global_load_dwordx4 v[24:27], v70, s[8:9] offset:368
	;; [unrolled: 1-line block ×6, first 2 shown]
	v_lshlrev_b32_sdwa v36, v92, v54 dst_sel:DWORD dst_unused:UNUSED_PAD src0_sel:DWORD src1_sel:BYTE_0
	s_clause 0x5
	global_load_dwordx4 v[12:15], v8, s[8:9] offset:384
	global_load_dwordx4 v[8:11], v8, s[8:9] offset:400
	;; [unrolled: 1-line block ×6, first 2 shown]
	v_mov_b32_e32 v63, 0x780
	ds_read_b128 v[55:58], v104
	ds_read_b128 v[59:62], v101
	ds_read_b128 v[67:70], v100 offset:3584
	v_mov_b32_e32 v76, 4
	v_mul_u32_u24_sdwa v92, v75, v63 dst_sel:DWORD dst_unused:UNUSED_PAD src0_sel:WORD_0 src1_sel:DWORD
	v_mul_u32_u24_sdwa v187, v73, v63 dst_sel:DWORD dst_unused:UNUSED_PAD src0_sel:WORD_0 src1_sel:DWORD
	;; [unrolled: 1-line block ×3, first 2 shown]
	ds_read_b128 v[71:74], v100 offset:10752
	ds_read_b128 v[63:66], v100 offset:8064
	v_lshlrev_b32_sdwa v189, v76, v52 dst_sel:DWORD dst_unused:UNUSED_PAD src0_sel:DWORD src1_sel:BYTE_0
	v_lshlrev_b32_sdwa v190, v76, v53 dst_sel:DWORD dst_unused:UNUSED_PAD src0_sel:DWORD src1_sel:BYTE_0
	;; [unrolled: 1-line block ×3, first 2 shown]
	ds_read_b128 v[75:78], v100 offset:6272
	ds_read_b128 v[79:82], v105
	ds_read_b128 v[107:110], v100 offset:8960
	ds_read_b128 v[111:114], v100 offset:7168
	;; [unrolled: 1-line block ×5, first 2 shown]
	ds_read_b128 v[127:130], v100
	ds_read_b128 v[131:134], v100 offset:12544
	ds_read_b128 v[135:138], v106
	s_mov_b32 s4, 0x134454ff
	s_mov_b32 s5, 0x3fee6f0e
	s_mov_b32 s10, s4
	s_mov_b32 s2, 0x4755a5e
	s_mov_b32 s3, 0x3fe2cf23
	s_mov_b32 s6, s2
	s_waitcnt vmcnt(0) lgkmcnt(0)
	s_barrier
	buffer_gl0_inv
	v_mul_f64 v[98:99], v[61:62], v[26:27]
	v_mul_f64 v[52:53], v[57:58], v[30:31]
	;; [unrolled: 1-line block ×24, first 2 shown]
	v_fma_f64 v[52:53], v[55:56], v[28:29], -v[52:53]
	v_fma_f64 v[28:29], v[57:58], v[28:29], v[30:31]
	v_fma_f64 v[30:31], v[59:60], v[24:25], -v[98:99]
	v_fma_f64 v[24:25], v[61:62], v[24:25], v[26:27]
	;; [unrolled: 2-line block ×12, first 2 shown]
	v_add_f64 v[38:39], v[127:128], v[52:53]
	v_add_f64 v[50:51], v[129:130], v[28:29]
	;; [unrolled: 1-line block ×8, first 2 shown]
	v_add_f64 v[62:63], v[28:29], -v[22:23]
	v_add_f64 v[117:118], v[28:29], -v[24:25]
	v_add_f64 v[107:108], v[20:21], v[18:19]
	v_add_f64 v[111:112], v[16:17], v[12:13]
	;; [unrolled: 1-line block ×3, first 2 shown]
	v_add_f64 v[28:29], v[24:25], -v[28:29]
	v_add_f64 v[121:122], v[4:5], -v[22:23]
	v_add_f64 v[159:160], v[79:80], v[8:9]
	v_add_f64 v[161:162], v[81:82], v[10:11]
	;; [unrolled: 1-line block ×7, first 2 shown]
	v_add_f64 v[64:65], v[24:25], -v[4:5]
	v_add_f64 v[66:67], v[52:53], -v[30:31]
	;; [unrolled: 1-line block ×18, first 2 shown]
	v_add_f64 v[8:9], v[38:39], v[30:31]
	v_add_f64 v[10:11], v[50:51], v[24:25]
	;; [unrolled: 1-line block ×3, first 2 shown]
	v_fma_f64 v[24:25], v[60:61], -0.5, v[127:128]
	v_fma_f64 v[30:31], v[70:71], -0.5, v[127:128]
	v_fma_f64 v[38:39], v[72:73], -0.5, v[129:130]
	v_add_f64 v[125:126], v[16:17], -v[12:13]
	v_add_f64 v[16:17], v[58:59], v[16:17]
	v_fma_f64 v[50:51], v[74:75], -0.5, v[129:130]
	v_add_f64 v[26:27], v[26:27], -v[14:15]
	v_add_f64 v[181:182], v[44:45], -v[40:41]
	v_fma_f64 v[56:57], v[107:108], -0.5, v[135:136]
	v_fma_f64 v[58:59], v[109:110], -0.5, v[135:136]
	;; [unrolled: 1-line block ×7, first 2 shown]
	v_add_f64 v[82:83], v[28:29], v[121:122]
	v_add_f64 v[28:29], v[159:160], v[48:49]
	;; [unrolled: 1-line block ×3, first 2 shown]
	v_fma_f64 v[70:71], v[113:114], -0.5, v[137:138]
	v_add_f64 v[133:134], v[14:15], -v[18:19]
	v_add_f64 v[183:184], v[48:49], -v[46:47]
	;; [unrolled: 1-line block ×6, first 2 shown]
	v_add_f64 v[109:110], v[32:33], v[149:150]
	v_add_f64 v[8:9], v[8:9], v[34:35]
	;; [unrolled: 1-line block ×4, first 2 shown]
	v_fma_f64 v[20:21], v[62:63], s[4:5], v[24:25]
	v_fma_f64 v[32:33], v[64:65], s[10:11], v[30:31]
	;; [unrolled: 1-line block ×3, first 2 shown]
	v_add_f64 v[16:17], v[16:17], v[12:13]
	v_fma_f64 v[30:31], v[64:65], s[4:5], v[30:31]
	v_fma_f64 v[121:122], v[115:116], s[4:5], v[50:51]
	;; [unrolled: 1-line block ×5, first 2 shown]
	v_add_f64 v[147:148], v[54:55], -v[12:13]
	v_add_f64 v[165:166], v[42:43], -v[46:47]
	;; [unrolled: 1-line block ×5, first 2 shown]
	v_add_f64 v[28:29], v[28:29], v[46:47]
	v_fma_f64 v[46:47], v[123:124], s[4:5], v[56:57]
	v_fma_f64 v[56:57], v[123:124], s[10:11], v[56:57]
	v_add_f64 v[40:41], v[44:45], v[40:41]
	v_fma_f64 v[44:45], v[125:126], s[10:11], v[58:59]
	v_fma_f64 v[58:59], v[125:126], s[4:5], v[58:59]
	;; [unrolled: 1-line block ×6, first 2 shown]
	v_add_f64 v[48:49], v[131:132], v[133:134]
	v_fma_f64 v[131:132], v[179:180], s[4:5], v[72:73]
	v_fma_f64 v[135:136], v[185:186], s[10:11], v[78:79]
	;; [unrolled: 1-line block ×8, first 2 shown]
	v_add_f64 v[66:67], v[66:67], v[68:69]
	v_add_f64 v[68:69], v[76:77], v[98:99]
	;; [unrolled: 1-line block ×4, first 2 shown]
	v_fma_f64 v[4:5], v[64:65], s[2:3], v[20:21]
	v_fma_f64 v[22:23], v[62:63], s[2:3], v[32:33]
	;; [unrolled: 1-line block ×3, first 2 shown]
	v_add_f64 v[12:13], v[18:19], v[14:15]
	v_add_f64 v[14:15], v[16:17], v[54:55]
	v_fma_f64 v[30:31], v[62:63], s[6:7], v[30:31]
	v_fma_f64 v[54:55], v[52:53], s[6:7], v[121:122]
	;; [unrolled: 1-line block ×3, first 2 shown]
	v_add_f64 v[8:9], v[8:9], v[6:7]
	v_fma_f64 v[6:7], v[64:65], s[6:7], v[24:25]
	v_fma_f64 v[38:39], v[115:116], s[2:3], v[38:39]
	v_add_f64 v[107:108], v[145:146], v[147:148]
	v_fma_f64 v[46:47], v[125:126], s[2:3], v[46:47]
	v_fma_f64 v[52:53], v[125:126], s[6:7], v[56:57]
	;; [unrolled: 1-line block ×4, first 2 shown]
	v_add_f64 v[98:99], v[139:140], v[141:142]
	v_fma_f64 v[44:45], v[123:124], s[2:3], v[44:45]
	v_fma_f64 v[62:63], v[26:27], s[6:7], v[129:130]
	;; [unrolled: 1-line block ×4, first 2 shown]
	v_add_f64 v[111:112], v[163:164], v[165:166]
	v_add_f64 v[117:118], v[171:172], v[173:174]
	v_fma_f64 v[70:71], v[181:182], s[2:3], v[131:132]
	v_fma_f64 v[121:122], v[183:184], s[6:7], v[135:136]
	v_add_f64 v[113:114], v[167:168], v[169:170]
	v_add_f64 v[119:120], v[175:176], v[177:178]
	v_fma_f64 v[115:116], v[179:180], s[2:3], v[133:134]
	v_fma_f64 v[123:124], v[185:186], s[6:7], v[137:138]
	;; [unrolled: 1-line block ×6, first 2 shown]
	v_add_f64 v[16:17], v[28:29], v[42:43]
	v_fma_f64 v[20:21], v[66:67], s[14:15], v[4:5]
	v_fma_f64 v[28:29], v[68:69], s[14:15], v[22:23]
	;; [unrolled: 1-line block ×8, first 2 shown]
	v_add_f64 v[18:19], v[40:41], v[36:37]
	v_fma_f64 v[36:37], v[48:49], s[14:15], v[46:47]
	v_fma_f64 v[38:39], v[107:108], s[14:15], v[58:59]
	;; [unrolled: 1-line block ×16, first 2 shown]
	v_add3_u32 v64, 0, v92, v189
	v_add3_u32 v65, 0, v187, v190
	;; [unrolled: 1-line block ×3, first 2 shown]
	ds_write_b128 v64, v[8:11]
	ds_write_b128 v64, v[20:23] offset:384
	ds_write_b128 v64, v[28:31] offset:768
	ds_write_b128 v64, v[32:35] offset:1152
	ds_write_b128 v64, v[24:27] offset:1536
	ds_write_b128 v65, v[12:15]
	ds_write_b128 v65, v[36:39] offset:384
	ds_write_b128 v65, v[44:47] offset:768
	ds_write_b128 v65, v[48:51] offset:1152
	ds_write_b128 v65, v[40:43] offset:1536
	;; [unrolled: 5-line block ×3, first 2 shown]
	s_waitcnt lgkmcnt(0)
	s_barrier
	buffer_gl0_inv
	ds_read_b128 v[28:31], v100
	ds_read_b128 v[60:63], v100 offset:1920
	ds_read_b128 v[56:59], v100 offset:3840
	;; [unrolled: 1-line block ×11, first 2 shown]
	ds_read_b128 v[32:35], v106
	ds_read_b128 v[72:75], v100 offset:12416
                                        ; implicit-def: $vgpr26_vgpr27
                                        ; implicit-def: $vgpr22_vgpr23
                                        ; implicit-def: $vgpr18_vgpr19
                                        ; implicit-def: $vgpr14_vgpr15
                                        ; implicit-def: $vgpr10_vgpr11
	s_and_saveexec_b32 s2, s1
	s_cbranch_execz .LBB0_25
; %bb.24:
	ds_read_b128 v[4:7], v105
	ds_read_b128 v[0:3], v100 offset:3712
	ds_read_b128 v[8:11], v100 offset:5632
	ds_read_b128 v[12:15], v100 offset:7552
	ds_read_b128 v[16:19], v100 offset:9472
	ds_read_b128 v[20:23], v100 offset:11392
	ds_read_b128 v[24:27], v100 offset:13312
.LBB0_25:
	s_or_b32 exec_lo, exec_lo, s2
	v_mul_u32_u24_e32 v92, 6, v84
	v_mul_i32_i24_e32 v98, 6, v91
	v_mov_b32_e32 v99, 0
	s_mov_b32 s10, 0x37e14327
	s_mov_b32 s4, 0x36b3c0b5
	v_lshlrev_b32_e32 v92, 4, v92
	s_mov_b32 s16, 0xe976ee23
	v_lshlrev_b64 v[123:124], 4, v[98:99]
	s_mov_b32 s11, 0x3fe948f6
	s_mov_b32 s5, 0x3fac98ee
	s_clause 0x3
	global_load_dwordx4 v[107:110], v92, s[8:9] offset:1888
	global_load_dwordx4 v[111:114], v92, s[8:9] offset:1904
	;; [unrolled: 1-line block ×4, first 2 shown]
	s_mov_b32 s17, 0xbfe11646
	s_mov_b32 s6, 0xaaaaaaaa
	v_add_co_u32 v151, s2, s8, v123
	v_add_co_ci_u32_e64 v152, s2, s9, v124, s2
	s_clause 0x7
	global_load_dwordx4 v[123:126], v92, s[8:9] offset:1952
	global_load_dwordx4 v[127:130], v92, s[8:9] offset:1936
	global_load_dwordx4 v[131:134], v[151:152], off offset:1888
	global_load_dwordx4 v[135:138], v[151:152], off offset:1904
	global_load_dwordx4 v[139:142], v[151:152], off offset:1968
	global_load_dwordx4 v[143:146], v[151:152], off offset:1920
	global_load_dwordx4 v[147:150], v[151:152], off offset:1952
	global_load_dwordx4 v[151:154], v[151:152], off offset:1936
	s_mov_b32 s2, 0x429ad128
	s_mov_b32 s3, 0x3febfeb5
	;; [unrolled: 1-line block ×13, first 2 shown]
	s_waitcnt vmcnt(0) lgkmcnt(0)
	s_barrier
	buffer_gl0_inv
	v_mul_f64 v[155:156], v[62:63], v[109:110]
	v_mul_f64 v[109:110], v[60:61], v[109:110]
	;; [unrolled: 1-line block ×24, first 2 shown]
	v_fma_f64 v[60:61], v[60:61], v[107:108], -v[155:156]
	v_fma_f64 v[62:63], v[62:63], v[107:108], v[109:110]
	v_fma_f64 v[56:57], v[56:57], v[111:112], -v[157:158]
	v_fma_f64 v[58:59], v[58:59], v[111:112], v[113:114]
	;; [unrolled: 2-line block ×12, first 2 shown]
	v_add_f64 v[107:108], v[60:61], v[80:81]
	v_add_f64 v[109:110], v[62:63], v[82:83]
	;; [unrolled: 1-line block ×4, first 2 shown]
	v_add_f64 v[60:61], v[60:61], -v[80:81]
	v_add_f64 v[62:63], v[62:63], -v[82:83]
	v_add_f64 v[80:81], v[64:65], v[68:69]
	v_add_f64 v[82:83], v[66:67], v[70:71]
	v_add_f64 v[64:65], v[68:69], -v[64:65]
	v_add_f64 v[66:67], v[70:71], -v[66:67]
	v_add_f64 v[68:69], v[48:49], v[72:73]
	v_add_f64 v[70:71], v[50:51], v[74:75]
	;; [unrolled: 4-line block ×3, first 2 shown]
	v_add_f64 v[56:57], v[56:57], -v[76:77]
	v_add_f64 v[58:59], v[58:59], -v[78:79]
	;; [unrolled: 1-line block ×4, first 2 shown]
	v_add_f64 v[52:53], v[36:37], v[40:41]
	v_add_f64 v[54:55], v[38:39], v[42:43]
	v_add_f64 v[36:37], v[40:41], -v[36:37]
	v_add_f64 v[38:39], v[42:43], -v[38:39]
	v_add_f64 v[40:41], v[111:112], v[107:108]
	v_add_f64 v[42:43], v[113:114], v[109:110]
	v_add_f64 v[76:77], v[111:112], -v[107:108]
	v_add_f64 v[78:79], v[113:114], -v[109:110]
	;; [unrolled: 1-line block ×6, first 2 shown]
	v_add_f64 v[123:124], v[72:73], v[68:69]
	v_add_f64 v[125:126], v[74:75], v[70:71]
	;; [unrolled: 1-line block ×4, first 2 shown]
	v_add_f64 v[119:120], v[64:65], -v[56:57]
	v_add_f64 v[121:122], v[66:67], -v[58:59]
	;; [unrolled: 1-line block ×6, first 2 shown]
	v_add_f64 v[40:41], v[80:81], v[40:41]
	v_add_f64 v[42:43], v[82:83], v[42:43]
	v_add_f64 v[68:69], v[68:69], -v[52:53]
	v_add_f64 v[70:71], v[70:71], -v[54:55]
	;; [unrolled: 1-line block ×4, first 2 shown]
	v_add_f64 v[131:132], v[36:37], v[44:45]
	v_add_f64 v[133:134], v[38:39], v[46:47]
	v_add_f64 v[135:136], v[36:37], -v[44:45]
	v_add_f64 v[137:138], v[38:39], -v[46:47]
	;; [unrolled: 1-line block ×4, first 2 shown]
	v_add_f64 v[52:53], v[52:53], v[123:124]
	v_add_f64 v[54:55], v[54:55], v[125:126]
	v_add_f64 v[64:65], v[60:61], -v[64:65]
	v_add_f64 v[66:67], v[62:63], -v[66:67]
	v_add_f64 v[60:61], v[115:116], v[60:61]
	v_add_f64 v[62:63], v[117:118], v[62:63]
	v_mul_f64 v[80:81], v[107:108], s[10:11]
	v_mul_f64 v[82:83], v[109:110], s[10:11]
	;; [unrolled: 1-line block ×8, first 2 shown]
	v_add_f64 v[28:29], v[28:29], v[40:41]
	v_add_f64 v[30:31], v[30:31], v[42:43]
	v_add_f64 v[36:37], v[48:49], -v[36:37]
	v_add_f64 v[38:39], v[50:51], -v[38:39]
	v_add_f64 v[48:49], v[131:132], v[48:49]
	v_add_f64 v[50:51], v[133:134], v[50:51]
	v_mul_f64 v[68:69], v[68:69], s[10:11]
	v_mul_f64 v[70:71], v[70:71], s[10:11]
	;; [unrolled: 1-line block ×4, first 2 shown]
	v_add_f64 v[32:33], v[32:33], v[52:53]
	v_add_f64 v[34:35], v[34:35], v[54:55]
	v_mul_f64 v[135:136], v[44:45], s[2:3]
	v_mul_f64 v[137:138], v[46:47], s[2:3]
	v_mul_f64 v[123:124], v[72:73], s[4:5]
	v_mul_f64 v[125:126], v[74:75], s[4:5]
	v_fma_f64 v[111:112], v[111:112], s[4:5], v[80:81]
	v_fma_f64 v[113:114], v[113:114], s[4:5], v[82:83]
	v_fma_f64 v[107:108], v[76:77], s[14:15], -v[107:108]
	v_fma_f64 v[109:110], v[78:79], s[14:15], -v[109:110]
	;; [unrolled: 1-line block ×4, first 2 shown]
	v_fma_f64 v[80:81], v[64:65], s[20:21], v[115:116]
	v_fma_f64 v[82:83], v[66:67], s[20:21], v[117:118]
	v_fma_f64 v[56:57], v[56:57], s[2:3], -v[115:116]
	v_fma_f64 v[58:59], v[58:59], s[2:3], -v[117:118]
	;; [unrolled: 1-line block ×4, first 2 shown]
	v_fma_f64 v[40:41], v[40:41], s[6:7], v[28:29]
	v_fma_f64 v[42:43], v[42:43], s[6:7], v[30:31]
	;; [unrolled: 1-line block ×8, first 2 shown]
	v_fma_f64 v[36:37], v[36:37], s[22:23], -v[135:136]
	v_fma_f64 v[38:39], v[38:39], s[22:23], -v[137:138]
	;; [unrolled: 1-line block ×8, first 2 shown]
	v_fma_f64 v[80:81], v[60:61], s[24:25], v[80:81]
	v_fma_f64 v[82:83], v[62:63], s[24:25], v[82:83]
	;; [unrolled: 1-line block ×6, first 2 shown]
	v_add_f64 v[64:65], v[111:112], v[40:41]
	v_add_f64 v[66:67], v[113:114], v[42:43]
	v_add_f64 v[76:77], v[76:77], v[40:41]
	v_add_f64 v[78:79], v[78:79], v[42:43]
	v_add_f64 v[107:108], v[107:108], v[40:41]
	v_add_f64 v[109:110], v[109:110], v[42:43]
	v_fma_f64 v[111:112], v[48:49], s[24:25], v[119:120]
	v_fma_f64 v[113:114], v[50:51], s[24:25], v[121:122]
	v_add_f64 v[127:128], v[72:73], v[52:53]
	v_add_f64 v[129:130], v[74:75], v[54:55]
	v_fma_f64 v[123:124], v[48:49], s[24:25], v[36:37]
	v_fma_f64 v[125:126], v[50:51], s[24:25], v[38:39]
	v_add_f64 v[131:132], v[68:69], v[52:53]
	v_add_f64 v[133:134], v[70:71], v[54:55]
	;; [unrolled: 4-line block ×3, first 2 shown]
	v_add_f64 v[36:37], v[82:83], v[64:65]
	v_add_f64 v[38:39], v[66:67], -v[80:81]
	v_add_f64 v[40:41], v[62:63], v[76:77]
	v_add_f64 v[42:43], v[78:79], -v[60:61]
	v_add_f64 v[44:45], v[107:108], -v[58:59]
	v_add_f64 v[46:47], v[56:57], v[109:110]
	v_add_f64 v[48:49], v[58:59], v[107:108]
	v_add_f64 v[50:51], v[109:110], -v[56:57]
	v_add_f64 v[52:53], v[76:77], -v[62:63]
	v_add_f64 v[54:55], v[60:61], v[78:79]
	v_add_f64 v[56:57], v[64:65], -v[82:83]
	v_add_f64 v[58:59], v[80:81], v[66:67]
	v_add_f64 v[60:61], v[113:114], v[127:128]
	v_add_f64 v[62:63], v[129:130], -v[111:112]
	v_add_f64 v[64:65], v[125:126], v[131:132]
	v_add_f64 v[66:67], v[133:134], -v[123:124]
	v_add_f64 v[68:69], v[72:73], -v[121:122]
	v_add_f64 v[70:71], v[119:120], v[74:75]
	v_add_f64 v[72:73], v[121:122], v[72:73]
	v_add_f64 v[74:75], v[74:75], -v[119:120]
	v_add_f64 v[76:77], v[131:132], -v[125:126]
	v_add_f64 v[78:79], v[123:124], v[133:134]
	v_add_f64 v[80:81], v[127:128], -v[113:114]
	v_add_f64 v[82:83], v[111:112], v[129:130]
	ds_write_b128 v100, v[28:31]
	ds_write_b128 v100, v[36:39] offset:1920
	ds_write_b128 v100, v[40:43] offset:3840
	;; [unrolled: 1-line block ×6, first 2 shown]
	ds_write_b128 v106, v[32:35]
	ds_write_b128 v106, v[60:63] offset:1920
	ds_write_b128 v106, v[64:67] offset:3840
	;; [unrolled: 1-line block ×6, first 2 shown]
	s_and_saveexec_b32 s26, s1
	s_cbranch_execz .LBB0_27
; %bb.26:
	v_add_nc_u32_e32 v28, -8, v84
	v_cndmask_b32_e64 v28, v28, v97, s1
	v_mul_i32_i24_e32 v98, 6, v28
	v_lshlrev_b64 v[28:29], 4, v[98:99]
	v_add_co_u32 v48, s1, s8, v28
	v_add_co_ci_u32_e64 v49, s1, s9, v29, s1
	s_clause 0x5
	global_load_dwordx4 v[28:31], v[48:49], off offset:1904
	global_load_dwordx4 v[32:35], v[48:49], off offset:1952
	;; [unrolled: 1-line block ×6, first 2 shown]
	s_waitcnt vmcnt(5)
	v_mul_f64 v[52:53], v[8:9], v[30:31]
	s_waitcnt vmcnt(4)
	v_mul_f64 v[54:55], v[20:21], v[34:35]
	s_waitcnt vmcnt(3)
	v_mul_f64 v[56:57], v[0:1], v[38:39]
	s_waitcnt vmcnt(2)
	v_mul_f64 v[58:59], v[24:25], v[42:43]
	v_mul_f64 v[30:31], v[10:11], v[30:31]
	v_mul_f64 v[34:35], v[22:23], v[34:35]
	;; [unrolled: 1-line block ×4, first 2 shown]
	s_waitcnt vmcnt(1)
	v_mul_f64 v[60:61], v[18:19], v[46:47]
	s_waitcnt vmcnt(0)
	v_mul_f64 v[62:63], v[14:15], v[50:51]
	v_mul_f64 v[50:51], v[12:13], v[50:51]
	;; [unrolled: 1-line block ×3, first 2 shown]
	v_fma_f64 v[10:11], v[10:11], v[28:29], v[52:53]
	v_fma_f64 v[22:23], v[22:23], v[32:33], v[54:55]
	;; [unrolled: 1-line block ×4, first 2 shown]
	v_fma_f64 v[8:9], v[8:9], v[28:29], -v[30:31]
	v_fma_f64 v[20:21], v[20:21], v[32:33], -v[34:35]
	;; [unrolled: 1-line block ×6, first 2 shown]
	v_fma_f64 v[14:15], v[14:15], v[48:49], v[50:51]
	v_fma_f64 v[18:19], v[18:19], v[44:45], v[46:47]
	v_add_f64 v[28:29], v[10:11], v[22:23]
	v_add_f64 v[10:11], v[10:11], -v[22:23]
	v_add_f64 v[30:31], v[2:3], v[26:27]
	v_add_f64 v[32:33], v[8:9], v[20:21]
	v_add_f64 v[8:9], v[8:9], -v[20:21]
	v_add_f64 v[34:35], v[0:1], v[24:25]
	v_add_f64 v[36:37], v[16:17], -v[12:13]
	v_add_f64 v[12:13], v[12:13], v[16:17]
	v_add_f64 v[20:21], v[14:15], v[18:19]
	v_add_f64 v[16:17], v[0:1], -v[24:25]
	v_add_f64 v[14:15], v[18:19], -v[14:15]
	;; [unrolled: 1-line block ×3, first 2 shown]
	v_add_f64 v[0:1], v[28:29], v[30:31]
	v_add_f64 v[2:3], v[32:33], v[34:35]
	v_add_f64 v[22:23], v[36:37], -v[8:9]
	v_add_f64 v[26:27], v[34:35], -v[12:13]
	;; [unrolled: 1-line block ×4, first 2 shown]
	v_add_f64 v[8:9], v[36:37], v[8:9]
	v_add_f64 v[42:43], v[10:11], -v[18:19]
	v_add_f64 v[36:37], v[16:17], -v[36:37]
	v_add_f64 v[40:41], v[20:21], v[0:1]
	v_add_f64 v[20:21], v[20:21], -v[28:29]
	v_add_f64 v[0:1], v[14:15], -v[10:11]
	v_add_f64 v[10:11], v[14:15], v[10:11]
	v_add_f64 v[44:45], v[12:13], v[2:3]
	v_add_f64 v[12:13], v[12:13], -v[32:33]
	v_mul_f64 v[22:23], v[22:23], s[16:17]
	v_mul_f64 v[26:27], v[26:27], s[10:11]
	;; [unrolled: 1-line block ×4, first 2 shown]
	v_add_f64 v[14:15], v[18:19], -v[14:15]
	v_mul_f64 v[48:49], v[42:43], s[2:3]
	v_add_f64 v[8:9], v[8:9], v[16:17]
	v_add_f64 v[2:3], v[6:7], v[40:41]
	v_add_f64 v[6:7], v[28:29], -v[30:31]
	v_mul_f64 v[28:29], v[20:21], s[4:5]
	v_mul_f64 v[30:31], v[0:1], s[16:17]
	v_add_f64 v[0:1], v[4:5], v[44:45]
	v_add_f64 v[4:5], v[32:33], -v[34:35]
	v_mul_f64 v[32:33], v[12:13], s[4:5]
	v_add_f64 v[10:11], v[10:11], v[18:19]
	v_fma_f64 v[16:17], v[36:37], s[20:21], v[22:23]
	v_fma_f64 v[18:19], v[20:21], s[4:5], v[24:25]
	;; [unrolled: 1-line block ×3, first 2 shown]
	v_fma_f64 v[20:21], v[36:37], s[22:23], -v[46:47]
	v_fma_f64 v[22:23], v[38:39], s[2:3], -v[22:23]
	v_fma_f64 v[34:35], v[40:41], s[6:7], v[2:3]
	v_fma_f64 v[24:25], v[6:7], s[18:19], -v[24:25]
	v_fma_f64 v[6:7], v[6:7], s[14:15], -v[28:29]
	v_fma_f64 v[28:29], v[14:15], s[20:21], v[30:31]
	v_fma_f64 v[36:37], v[44:45], s[6:7], v[0:1]
	v_fma_f64 v[14:15], v[14:15], s[22:23], -v[48:49]
	v_fma_f64 v[26:27], v[4:5], s[18:19], -v[26:27]
	;; [unrolled: 1-line block ×4, first 2 shown]
	v_fma_f64 v[16:17], v[8:9], s[24:25], v[16:17]
	v_fma_f64 v[20:21], v[8:9], s[24:25], v[20:21]
	;; [unrolled: 1-line block ×3, first 2 shown]
	v_add_f64 v[32:33], v[18:19], v[34:35]
	v_add_f64 v[22:23], v[24:25], v[34:35]
	;; [unrolled: 1-line block ×3, first 2 shown]
	v_fma_f64 v[28:29], v[10:11], s[24:25], v[28:29]
	v_add_f64 v[38:39], v[12:13], v[36:37]
	v_fma_f64 v[34:35], v[10:11], s[24:25], v[14:15]
	v_add_f64 v[40:41], v[26:27], v[36:37]
	;; [unrolled: 2-line block ×3, first 2 shown]
	v_add_f64 v[26:27], v[32:33], -v[16:17]
	v_add_f64 v[10:11], v[20:21], v[22:23]
	v_add_f64 v[22:23], v[22:23], -v[20:21]
	v_add_f64 v[6:7], v[16:17], v[32:33]
	v_add_f64 v[24:25], v[28:29], v[38:39]
	v_add_f64 v[14:15], v[18:19], -v[8:9]
	v_add_f64 v[20:21], v[34:35], v[40:41]
	;; [unrolled: 3-line block ×3, first 2 shown]
	v_add_f64 v[8:9], v[40:41], -v[34:35]
	v_add_f64 v[4:5], v[38:39], -v[28:29]
	ds_write_b128 v100, v[0:3] offset:1792
	ds_write_b128 v100, v[24:27] offset:3712
	;; [unrolled: 1-line block ×7, first 2 shown]
.LBB0_27:
	s_or_b32 exec_lo, exec_lo, s26
	s_waitcnt lgkmcnt(0)
	s_barrier
	buffer_gl0_inv
	ds_read_b128 v[4:7], v100
	v_sub_nc_u32_e32 v10, 0, v85
	s_add_u32 s2, s8, 0x3460
	s_addc_u32 s3, s9, 0
	s_mov_b32 s4, exec_lo
                                        ; implicit-def: $vgpr2_vgpr3
                                        ; implicit-def: $vgpr8_vgpr9
	v_cmpx_ne_u32_e32 0, v84
	s_xor_b32 s4, exec_lo, s4
	s_cbranch_execz .LBB0_29
; %bb.28:
	v_mov_b32_e32 v85, 0
	v_lshlrev_b64 v[0:1], 4, v[84:85]
	v_add_co_u32 v0, s1, s2, v0
	v_add_co_ci_u32_e64 v1, s1, s3, v1, s1
	global_load_dwordx4 v[11:14], v[0:1], off
	ds_read_b128 v[0:3], v10 offset:13440
	s_waitcnt lgkmcnt(0)
	v_add_f64 v[8:9], v[4:5], -v[0:1]
	v_add_f64 v[15:16], v[6:7], v[2:3]
	v_add_f64 v[2:3], v[6:7], -v[2:3]
	v_add_f64 v[0:1], v[4:5], v[0:1]
	v_mul_f64 v[6:7], v[8:9], 0.5
	v_mul_f64 v[4:5], v[15:16], 0.5
	;; [unrolled: 1-line block ×3, first 2 shown]
	s_waitcnt vmcnt(0)
	v_mul_f64 v[8:9], v[6:7], v[13:14]
	v_fma_f64 v[15:16], v[4:5], v[13:14], v[2:3]
	v_fma_f64 v[2:3], v[4:5], v[13:14], -v[2:3]
	v_fma_f64 v[17:18], v[0:1], 0.5, v[8:9]
	v_fma_f64 v[0:1], v[0:1], 0.5, -v[8:9]
	v_fma_f64 v[8:9], -v[11:12], v[6:7], v[15:16]
	v_fma_f64 v[2:3], -v[11:12], v[6:7], v[2:3]
	v_fma_f64 v[13:14], v[4:5], v[11:12], v[17:18]
	v_fma_f64 v[0:1], -v[4:5], v[11:12], v[0:1]
                                        ; implicit-def: $vgpr4_vgpr5
	ds_write_b64 v100, v[13:14]
.LBB0_29:
	s_andn2_saveexec_b32 s1, s4
	s_cbranch_execz .LBB0_31
; %bb.30:
	v_mov_b32_e32 v15, 0
	s_waitcnt lgkmcnt(0)
	v_add_f64 v[13:14], v[4:5], v[6:7]
	v_add_f64 v[0:1], v[4:5], -v[6:7]
	v_mov_b32_e32 v8, 0
	v_mov_b32_e32 v9, 0
	ds_read_b64 v[11:12], v15 offset:6728
	v_mov_b32_e32 v2, v8
	v_mov_b32_e32 v3, v9
	s_waitcnt lgkmcnt(0)
	v_xor_b32_e32 v12, 0x80000000, v12
	ds_write_b64 v100, v[13:14]
	ds_write_b64 v15, v[11:12] offset:6728
.LBB0_31:
	s_or_b32 exec_lo, exec_lo, s1
	v_mov_b32_e32 v92, 0
	ds_write_b64 v100, v[8:9] offset:8
	ds_write_b128 v10, v[0:3] offset:13440
	s_waitcnt lgkmcnt(2)
	v_lshlrev_b64 v[4:5], 4, v[91:92]
	v_mov_b32_e32 v98, v92
	v_lshlrev_b64 v[11:12], 4, v[97:98]
	v_add_co_u32 v4, s1, s2, v4
	v_add_co_ci_u32_e64 v5, s1, s3, v5, s1
	v_mov_b32_e32 v97, v92
	v_add_co_u32 v11, s1, s2, v11
	global_load_dwordx4 v[4:7], v[4:5], off
	v_add_co_ci_u32_e64 v12, s1, s3, v12, s1
	v_lshlrev_b64 v[8:9], 4, v[96:97]
	v_mov_b32_e32 v96, v92
	global_load_dwordx4 v[11:14], v[11:12], off
	ds_read_b128 v[0:3], v106
	ds_read_b128 v[15:18], v10 offset:12544
	v_add_co_u32 v8, s1, s2, v8
	v_add_co_ci_u32_e64 v9, s1, s3, v9, s1
	global_load_dwordx4 v[19:22], v[8:9], off
	s_waitcnt lgkmcnt(0)
	v_add_f64 v[8:9], v[0:1], -v[15:16]
	v_add_f64 v[23:24], v[2:3], v[17:18]
	v_add_f64 v[2:3], v[2:3], -v[17:18]
	v_add_f64 v[0:1], v[0:1], v[15:16]
	v_mul_f64 v[8:9], v[8:9], 0.5
	v_mul_f64 v[17:18], v[23:24], 0.5
	v_mul_f64 v[2:3], v[2:3], 0.5
	s_waitcnt vmcnt(2)
	v_mul_f64 v[15:16], v[8:9], v[6:7]
	v_fma_f64 v[23:24], v[17:18], v[6:7], v[2:3]
	v_fma_f64 v[6:7], v[17:18], v[6:7], -v[2:3]
	v_fma_f64 v[25:26], v[0:1], 0.5, v[15:16]
	v_fma_f64 v[15:16], v[0:1], 0.5, -v[15:16]
	v_fma_f64 v[2:3], -v[4:5], v[8:9], v[23:24]
	v_fma_f64 v[6:7], -v[4:5], v[8:9], v[6:7]
	v_lshlrev_b64 v[8:9], 4, v[95:96]
	v_mov_b32_e32 v95, v92
	v_add_co_u32 v8, s1, s2, v8
	v_add_co_ci_u32_e64 v9, s1, s3, v9, s1
	v_fma_f64 v[0:1], v[17:18], v[4:5], v[25:26]
	v_fma_f64 v[4:5], -v[17:18], v[4:5], v[15:16]
	ds_write_b128 v106, v[0:3]
	ds_write_b128 v10, v[4:7] offset:12544
	ds_read_b128 v[0:3], v105
	ds_read_b128 v[4:7], v10 offset:11648
	global_load_dwordx4 v[15:18], v[8:9], off
	s_waitcnt lgkmcnt(0)
	v_add_f64 v[8:9], v[0:1], -v[4:5]
	v_add_f64 v[23:24], v[2:3], v[6:7]
	v_add_f64 v[2:3], v[2:3], -v[6:7]
	v_add_f64 v[0:1], v[0:1], v[4:5]
	v_mul_f64 v[6:7], v[8:9], 0.5
	v_mul_f64 v[8:9], v[23:24], 0.5
	;; [unrolled: 1-line block ×3, first 2 shown]
	s_waitcnt vmcnt(2)
	v_mul_f64 v[4:5], v[6:7], v[13:14]
	v_fma_f64 v[23:24], v[8:9], v[13:14], v[2:3]
	v_fma_f64 v[13:14], v[8:9], v[13:14], -v[2:3]
	v_fma_f64 v[25:26], v[0:1], 0.5, v[4:5]
	v_fma_f64 v[4:5], v[0:1], 0.5, -v[4:5]
	v_fma_f64 v[2:3], -v[11:12], v[6:7], v[23:24]
	v_fma_f64 v[6:7], -v[11:12], v[6:7], v[13:14]
	v_fma_f64 v[0:1], v[8:9], v[11:12], v[25:26]
	v_fma_f64 v[4:5], -v[8:9], v[11:12], v[4:5]
	v_lshlrev_b64 v[8:9], 4, v[94:95]
	v_mov_b32_e32 v94, v92
	ds_write_b128 v105, v[0:3]
	ds_write_b128 v10, v[4:7] offset:11648
	v_add_co_u32 v8, s1, s2, v8
	ds_read_b128 v[0:3], v104
	ds_read_b128 v[4:7], v10 offset:10752
	v_add_co_ci_u32_e64 v9, s1, s3, v9, s1
	global_load_dwordx4 v[11:14], v[8:9], off
	s_waitcnt lgkmcnt(0)
	v_add_f64 v[8:9], v[0:1], -v[4:5]
	v_add_f64 v[23:24], v[2:3], v[6:7]
	v_add_f64 v[2:3], v[2:3], -v[6:7]
	v_add_f64 v[0:1], v[0:1], v[4:5]
	v_mul_f64 v[6:7], v[8:9], 0.5
	v_mul_f64 v[8:9], v[23:24], 0.5
	;; [unrolled: 1-line block ×3, first 2 shown]
	s_waitcnt vmcnt(2)
	v_mul_f64 v[4:5], v[6:7], v[21:22]
	v_fma_f64 v[23:24], v[8:9], v[21:22], v[2:3]
	v_fma_f64 v[21:22], v[8:9], v[21:22], -v[2:3]
	v_fma_f64 v[25:26], v[0:1], 0.5, v[4:5]
	v_fma_f64 v[4:5], v[0:1], 0.5, -v[4:5]
	v_fma_f64 v[2:3], -v[19:20], v[6:7], v[23:24]
	v_fma_f64 v[6:7], -v[19:20], v[6:7], v[21:22]
	v_fma_f64 v[0:1], v[8:9], v[19:20], v[25:26]
	v_fma_f64 v[4:5], -v[8:9], v[19:20], v[4:5]
	v_lshlrev_b64 v[8:9], 4, v[93:94]
	ds_write_b128 v104, v[0:3]
	ds_write_b128 v10, v[4:7] offset:10752
	v_add_co_u32 v8, s1, s2, v8
	ds_read_b128 v[0:3], v103
	ds_read_b128 v[4:7], v10 offset:9856
	v_add_co_ci_u32_e64 v9, s1, s3, v9, s1
	global_load_dwordx4 v[19:22], v[8:9], off
	s_waitcnt lgkmcnt(0)
	v_add_f64 v[8:9], v[0:1], -v[4:5]
	v_add_f64 v[23:24], v[2:3], v[6:7]
	v_add_f64 v[2:3], v[2:3], -v[6:7]
	v_add_f64 v[0:1], v[0:1], v[4:5]
	v_mul_f64 v[6:7], v[8:9], 0.5
	v_mul_f64 v[8:9], v[23:24], 0.5
	;; [unrolled: 1-line block ×3, first 2 shown]
	s_waitcnt vmcnt(2)
	v_mul_f64 v[4:5], v[6:7], v[17:18]
	v_fma_f64 v[23:24], v[8:9], v[17:18], v[2:3]
	v_fma_f64 v[17:18], v[8:9], v[17:18], -v[2:3]
	v_fma_f64 v[25:26], v[0:1], 0.5, v[4:5]
	v_fma_f64 v[4:5], v[0:1], 0.5, -v[4:5]
	v_fma_f64 v[2:3], -v[15:16], v[6:7], v[23:24]
	v_fma_f64 v[6:7], -v[15:16], v[6:7], v[17:18]
	v_fma_f64 v[0:1], v[8:9], v[15:16], v[25:26]
	v_fma_f64 v[4:5], -v[8:9], v[15:16], v[4:5]
	ds_write_b128 v103, v[0:3]
	ds_write_b128 v10, v[4:7] offset:9856
	ds_read_b128 v[0:3], v102
	ds_read_b128 v[4:7], v10 offset:8960
	s_waitcnt lgkmcnt(0)
	v_add_f64 v[8:9], v[0:1], -v[4:5]
	v_add_f64 v[15:16], v[2:3], v[6:7]
	v_add_f64 v[2:3], v[2:3], -v[6:7]
	v_add_f64 v[0:1], v[0:1], v[4:5]
	v_mul_f64 v[6:7], v[8:9], 0.5
	v_mul_f64 v[8:9], v[15:16], 0.5
	;; [unrolled: 1-line block ×3, first 2 shown]
	s_waitcnt vmcnt(1)
	v_mul_f64 v[4:5], v[6:7], v[13:14]
	v_fma_f64 v[15:16], v[8:9], v[13:14], v[2:3]
	v_fma_f64 v[13:14], v[8:9], v[13:14], -v[2:3]
	v_fma_f64 v[17:18], v[0:1], 0.5, v[4:5]
	v_fma_f64 v[4:5], v[0:1], 0.5, -v[4:5]
	v_fma_f64 v[2:3], -v[11:12], v[6:7], v[15:16]
	v_fma_f64 v[6:7], -v[11:12], v[6:7], v[13:14]
	v_fma_f64 v[0:1], v[8:9], v[11:12], v[17:18]
	v_fma_f64 v[4:5], -v[8:9], v[11:12], v[4:5]
	ds_write_b128 v102, v[0:3]
	ds_write_b128 v10, v[4:7] offset:8960
	ds_read_b128 v[0:3], v101
	ds_read_b128 v[4:7], v10 offset:8064
	s_waitcnt lgkmcnt(0)
	v_add_f64 v[8:9], v[0:1], -v[4:5]
	v_add_f64 v[11:12], v[2:3], v[6:7]
	v_add_f64 v[2:3], v[2:3], -v[6:7]
	v_add_f64 v[0:1], v[0:1], v[4:5]
	v_mul_f64 v[6:7], v[8:9], 0.5
	v_mul_f64 v[8:9], v[11:12], 0.5
	;; [unrolled: 1-line block ×3, first 2 shown]
	s_waitcnt vmcnt(0)
	v_mul_f64 v[4:5], v[6:7], v[21:22]
	v_fma_f64 v[11:12], v[8:9], v[21:22], v[2:3]
	v_fma_f64 v[13:14], v[8:9], v[21:22], -v[2:3]
	v_fma_f64 v[15:16], v[0:1], 0.5, v[4:5]
	v_fma_f64 v[4:5], v[0:1], 0.5, -v[4:5]
	v_fma_f64 v[2:3], -v[19:20], v[6:7], v[11:12]
	v_fma_f64 v[6:7], -v[19:20], v[6:7], v[13:14]
	v_fma_f64 v[0:1], v[8:9], v[19:20], v[15:16]
	v_fma_f64 v[4:5], -v[8:9], v[19:20], v[4:5]
	ds_write_b128 v101, v[0:3]
	ds_write_b128 v10, v[4:7] offset:8064
	s_and_saveexec_b32 s1, s0
	s_cbranch_execz .LBB0_33
; %bb.32:
	v_mov_b32_e32 v91, v92
	v_lshlrev_b64 v[0:1], 4, v[90:91]
	v_add_co_u32 v0, s0, s2, v0
	v_add_co_ci_u32_e64 v1, s0, s3, v1, s0
	global_load_dwordx4 v[0:3], v[0:1], off
	ds_read_b128 v[4:7], v87
	ds_read_b128 v[11:14], v10 offset:7168
	s_waitcnt lgkmcnt(0)
	v_add_f64 v[8:9], v[4:5], -v[11:12]
	v_add_f64 v[15:16], v[6:7], v[13:14]
	v_add_f64 v[6:7], v[6:7], -v[13:14]
	v_add_f64 v[4:5], v[4:5], v[11:12]
	v_mul_f64 v[8:9], v[8:9], 0.5
	v_mul_f64 v[13:14], v[15:16], 0.5
	;; [unrolled: 1-line block ×3, first 2 shown]
	s_waitcnt vmcnt(0)
	v_mul_f64 v[11:12], v[8:9], v[2:3]
	v_fma_f64 v[15:16], v[13:14], v[2:3], v[6:7]
	v_fma_f64 v[2:3], v[13:14], v[2:3], -v[6:7]
	v_fma_f64 v[6:7], v[4:5], 0.5, v[11:12]
	v_fma_f64 v[11:12], v[4:5], 0.5, -v[11:12]
	v_fma_f64 v[4:5], -v[0:1], v[8:9], v[15:16]
	v_fma_f64 v[8:9], -v[0:1], v[8:9], v[2:3]
	v_fma_f64 v[2:3], v[13:14], v[0:1], v[6:7]
	v_fma_f64 v[6:7], -v[13:14], v[0:1], v[11:12]
	ds_write_b128 v87, v[2:5]
	ds_write_b128 v10, v[6:9] offset:7168
.LBB0_33:
	s_or_b32 exec_lo, exec_lo, s1
	s_waitcnt lgkmcnt(0)
	s_barrier
	buffer_gl0_inv
	s_and_saveexec_b32 s0, vcc_lo
	s_cbranch_execz .LBB0_36
; %bb.34:
	ds_read_b128 v[2:5], v100
	ds_read_b128 v[6:9], v100 offset:896
	v_mov_b32_e32 v85, 0
	v_add_co_u32 v0, vcc_lo, s12, v88
	ds_read_b128 v[10:13], v100 offset:1792
	ds_read_b128 v[14:17], v100 offset:2688
	;; [unrolled: 1-line block ×4, first 2 shown]
	v_add_co_ci_u32_e32 v1, vcc_lo, s13, v89, vcc_lo
	v_lshlrev_b64 v[26:27], 4, v[84:85]
	v_mov_b32_e32 v87, v85
	v_add_co_u32 v38, vcc_lo, v0, v26
	v_add_co_ci_u32_e32 v39, vcc_lo, v1, v27, vcc_lo
	s_waitcnt lgkmcnt(5)
	global_store_dwordx4 v[38:39], v[2:5], off
	s_waitcnt lgkmcnt(4)
	global_store_dwordx4 v[38:39], v[6:9], off offset:896
	v_add_co_u32 v2, vcc_lo, 0x800, v38
	v_add_co_ci_u32_e32 v3, vcc_lo, 0, v39, vcc_lo
	v_add_co_u32 v40, vcc_lo, 0x1000, v38
	v_add_co_ci_u32_e32 v41, vcc_lo, 0, v39, vcc_lo
	s_waitcnt lgkmcnt(3)
	global_store_dwordx4 v[38:39], v[10:13], off offset:1792
	s_waitcnt lgkmcnt(2)
	global_store_dwordx4 v[2:3], v[14:17], off offset:640
	;; [unrolled: 2-line block ×4, first 2 shown]
	ds_read_b128 v[2:5], v100 offset:5376
	ds_read_b128 v[6:9], v100 offset:6272
	;; [unrolled: 1-line block ×5, first 2 shown]
	v_lshlrev_b64 v[22:23], 4, v[86:87]
	v_add_co_u32 v42, vcc_lo, 0x1800, v38
	v_add_co_ci_u32_e32 v43, vcc_lo, 0, v39, vcc_lo
	v_add_co_u32 v44, vcc_lo, v0, v22
	v_add_co_ci_u32_e32 v45, vcc_lo, v1, v23, vcc_lo
	ds_read_b128 v[22:25], v100 offset:9856
	ds_read_b128 v[26:29], v100 offset:10752
	;; [unrolled: 1-line block ×4, first 2 shown]
	v_add_co_u32 v46, vcc_lo, 0x2000, v38
	v_add_co_ci_u32_e32 v47, vcc_lo, 0, v39, vcc_lo
	s_waitcnt lgkmcnt(8)
	global_store_dwordx4 v[40:41], v[2:5], off offset:1280
	s_waitcnt lgkmcnt(7)
	global_store_dwordx4 v[42:43], v[6:9], off offset:128
	s_waitcnt lgkmcnt(6)
	global_store_dwordx4 v[44:45], v[10:13], off
	s_waitcnt lgkmcnt(5)
	global_store_dwordx4 v[42:43], v[14:17], off offset:1920
	s_waitcnt lgkmcnt(4)
	global_store_dwordx4 v[46:47], v[18:21], off offset:768
	v_add_co_u32 v2, vcc_lo, 0x2800, v38
	v_add_co_ci_u32_e32 v3, vcc_lo, 0, v39, vcc_lo
	v_add_co_u32 v4, vcc_lo, 0x3000, v38
	v_add_co_ci_u32_e32 v5, vcc_lo, 0, v39, vcc_lo
	v_cmp_eq_u32_e32 vcc_lo, 55, v84
	s_waitcnt lgkmcnt(3)
	global_store_dwordx4 v[46:47], v[22:25], off offset:1664
	s_waitcnt lgkmcnt(2)
	global_store_dwordx4 v[2:3], v[26:29], off offset:512
	;; [unrolled: 2-line block ×4, first 2 shown]
	s_and_b32 exec_lo, exec_lo, vcc_lo
	s_cbranch_execz .LBB0_36
; %bb.35:
	ds_read_b128 v[2:5], v85 offset:13440
	v_add_co_u32 v0, vcc_lo, 0x3000, v0
	v_add_co_ci_u32_e32 v1, vcc_lo, 0, v1, vcc_lo
	s_waitcnt lgkmcnt(0)
	global_store_dwordx4 v[0:1], v[2:5], off offset:1152
.LBB0_36:
	s_endpgm
	.section	.rodata,"a",@progbits
	.p2align	6, 0x0
	.amdhsa_kernel fft_rtc_fwd_len840_factors_2_2_2_3_5_7_wgs_56_tpt_56_halfLds_dp_ip_CI_unitstride_sbrr_R2C_dirReg
		.amdhsa_group_segment_fixed_size 0
		.amdhsa_private_segment_fixed_size 0
		.amdhsa_kernarg_size 88
		.amdhsa_user_sgpr_count 6
		.amdhsa_user_sgpr_private_segment_buffer 1
		.amdhsa_user_sgpr_dispatch_ptr 0
		.amdhsa_user_sgpr_queue_ptr 0
		.amdhsa_user_sgpr_kernarg_segment_ptr 1
		.amdhsa_user_sgpr_dispatch_id 0
		.amdhsa_user_sgpr_flat_scratch_init 0
		.amdhsa_user_sgpr_private_segment_size 0
		.amdhsa_wavefront_size32 1
		.amdhsa_uses_dynamic_stack 0
		.amdhsa_system_sgpr_private_segment_wavefront_offset 0
		.amdhsa_system_sgpr_workgroup_id_x 1
		.amdhsa_system_sgpr_workgroup_id_y 0
		.amdhsa_system_sgpr_workgroup_id_z 0
		.amdhsa_system_sgpr_workgroup_info 0
		.amdhsa_system_vgpr_workitem_id 0
		.amdhsa_next_free_vgpr 192
		.amdhsa_next_free_sgpr 27
		.amdhsa_reserve_vcc 1
		.amdhsa_reserve_flat_scratch 0
		.amdhsa_float_round_mode_32 0
		.amdhsa_float_round_mode_16_64 0
		.amdhsa_float_denorm_mode_32 3
		.amdhsa_float_denorm_mode_16_64 3
		.amdhsa_dx10_clamp 1
		.amdhsa_ieee_mode 1
		.amdhsa_fp16_overflow 0
		.amdhsa_workgroup_processor_mode 1
		.amdhsa_memory_ordered 1
		.amdhsa_forward_progress 0
		.amdhsa_shared_vgpr_count 0
		.amdhsa_exception_fp_ieee_invalid_op 0
		.amdhsa_exception_fp_denorm_src 0
		.amdhsa_exception_fp_ieee_div_zero 0
		.amdhsa_exception_fp_ieee_overflow 0
		.amdhsa_exception_fp_ieee_underflow 0
		.amdhsa_exception_fp_ieee_inexact 0
		.amdhsa_exception_int_div_zero 0
	.end_amdhsa_kernel
	.text
.Lfunc_end0:
	.size	fft_rtc_fwd_len840_factors_2_2_2_3_5_7_wgs_56_tpt_56_halfLds_dp_ip_CI_unitstride_sbrr_R2C_dirReg, .Lfunc_end0-fft_rtc_fwd_len840_factors_2_2_2_3_5_7_wgs_56_tpt_56_halfLds_dp_ip_CI_unitstride_sbrr_R2C_dirReg
                                        ; -- End function
	.section	.AMDGPU.csdata,"",@progbits
; Kernel info:
; codeLenInByte = 13932
; NumSgprs: 29
; NumVgprs: 192
; ScratchSize: 0
; MemoryBound: 0
; FloatMode: 240
; IeeeMode: 1
; LDSByteSize: 0 bytes/workgroup (compile time only)
; SGPRBlocks: 3
; VGPRBlocks: 23
; NumSGPRsForWavesPerEU: 29
; NumVGPRsForWavesPerEU: 192
; Occupancy: 5
; WaveLimiterHint : 1
; COMPUTE_PGM_RSRC2:SCRATCH_EN: 0
; COMPUTE_PGM_RSRC2:USER_SGPR: 6
; COMPUTE_PGM_RSRC2:TRAP_HANDLER: 0
; COMPUTE_PGM_RSRC2:TGID_X_EN: 1
; COMPUTE_PGM_RSRC2:TGID_Y_EN: 0
; COMPUTE_PGM_RSRC2:TGID_Z_EN: 0
; COMPUTE_PGM_RSRC2:TIDIG_COMP_CNT: 0
	.text
	.p2alignl 6, 3214868480
	.fill 48, 4, 3214868480
	.type	__hip_cuid_814abc92f76e1e6e,@object ; @__hip_cuid_814abc92f76e1e6e
	.section	.bss,"aw",@nobits
	.globl	__hip_cuid_814abc92f76e1e6e
__hip_cuid_814abc92f76e1e6e:
	.byte	0                               ; 0x0
	.size	__hip_cuid_814abc92f76e1e6e, 1

	.ident	"AMD clang version 19.0.0git (https://github.com/RadeonOpenCompute/llvm-project roc-6.4.0 25133 c7fe45cf4b819c5991fe208aaa96edf142730f1d)"
	.section	".note.GNU-stack","",@progbits
	.addrsig
	.addrsig_sym __hip_cuid_814abc92f76e1e6e
	.amdgpu_metadata
---
amdhsa.kernels:
  - .args:
      - .actual_access:  read_only
        .address_space:  global
        .offset:         0
        .size:           8
        .value_kind:     global_buffer
      - .offset:         8
        .size:           8
        .value_kind:     by_value
      - .actual_access:  read_only
        .address_space:  global
        .offset:         16
        .size:           8
        .value_kind:     global_buffer
      - .actual_access:  read_only
        .address_space:  global
        .offset:         24
        .size:           8
        .value_kind:     global_buffer
      - .offset:         32
        .size:           8
        .value_kind:     by_value
      - .actual_access:  read_only
        .address_space:  global
        .offset:         40
        .size:           8
        .value_kind:     global_buffer
      - .actual_access:  read_only
        .address_space:  global
        .offset:         48
        .size:           8
        .value_kind:     global_buffer
      - .offset:         56
        .size:           4
        .value_kind:     by_value
      - .actual_access:  read_only
        .address_space:  global
        .offset:         64
        .size:           8
        .value_kind:     global_buffer
      - .actual_access:  read_only
        .address_space:  global
        .offset:         72
        .size:           8
        .value_kind:     global_buffer
      - .address_space:  global
        .offset:         80
        .size:           8
        .value_kind:     global_buffer
    .group_segment_fixed_size: 0
    .kernarg_segment_align: 8
    .kernarg_segment_size: 88
    .language:       OpenCL C
    .language_version:
      - 2
      - 0
    .max_flat_workgroup_size: 56
    .name:           fft_rtc_fwd_len840_factors_2_2_2_3_5_7_wgs_56_tpt_56_halfLds_dp_ip_CI_unitstride_sbrr_R2C_dirReg
    .private_segment_fixed_size: 0
    .sgpr_count:     29
    .sgpr_spill_count: 0
    .symbol:         fft_rtc_fwd_len840_factors_2_2_2_3_5_7_wgs_56_tpt_56_halfLds_dp_ip_CI_unitstride_sbrr_R2C_dirReg.kd
    .uniform_work_group_size: 1
    .uses_dynamic_stack: false
    .vgpr_count:     192
    .vgpr_spill_count: 0
    .wavefront_size: 32
    .workgroup_processor_mode: 1
amdhsa.target:   amdgcn-amd-amdhsa--gfx1030
amdhsa.version:
  - 1
  - 2
...

	.end_amdgpu_metadata
